;; amdgpu-corpus repo=ROCm/rocFFT kind=compiled arch=gfx1030 opt=O3
	.text
	.amdgcn_target "amdgcn-amd-amdhsa--gfx1030"
	.amdhsa_code_object_version 6
	.protected	fft_rtc_fwd_len1430_factors_13_11_10_wgs_143_tpt_143_sp_op_CI_CI_unitstride_sbrr_dirReg ; -- Begin function fft_rtc_fwd_len1430_factors_13_11_10_wgs_143_tpt_143_sp_op_CI_CI_unitstride_sbrr_dirReg
	.globl	fft_rtc_fwd_len1430_factors_13_11_10_wgs_143_tpt_143_sp_op_CI_CI_unitstride_sbrr_dirReg
	.p2align	8
	.type	fft_rtc_fwd_len1430_factors_13_11_10_wgs_143_tpt_143_sp_op_CI_CI_unitstride_sbrr_dirReg,@function
fft_rtc_fwd_len1430_factors_13_11_10_wgs_143_tpt_143_sp_op_CI_CI_unitstride_sbrr_dirReg: ; @fft_rtc_fwd_len1430_factors_13_11_10_wgs_143_tpt_143_sp_op_CI_CI_unitstride_sbrr_dirReg
; %bb.0:
	s_clause 0x2
	s_load_dwordx4 s[12:15], s[4:5], 0x0
	s_load_dwordx4 s[8:11], s[4:5], 0x58
	;; [unrolled: 1-line block ×3, first 2 shown]
	v_mul_u32_u24_e32 v2, 0x1cb, v0
	v_mov_b32_e32 v1, 0
	v_mov_b32_e32 v10, 0
	;; [unrolled: 1-line block ×3, first 2 shown]
	v_add_nc_u32_sdwa v3, s6, v2 dst_sel:DWORD dst_unused:UNUSED_PAD src0_sel:DWORD src1_sel:WORD_1
	v_mov_b32_e32 v4, v1
	s_waitcnt lgkmcnt(0)
	v_cmp_lt_u64_e64 s0, s[14:15], 2
	s_and_b32 vcc_lo, exec_lo, s0
	s_cbranch_vccnz .LBB0_8
; %bb.1:
	s_load_dwordx2 s[0:1], s[4:5], 0x10
	v_mov_b32_e32 v10, 0
	v_mov_b32_e32 v11, 0
	s_add_u32 s2, s18, 8
	s_addc_u32 s3, s19, 0
	s_add_u32 s6, s16, 8
	s_addc_u32 s7, s17, 0
	v_mov_b32_e32 v21, v11
	v_mov_b32_e32 v20, v10
	s_mov_b64 s[22:23], 1
	s_waitcnt lgkmcnt(0)
	s_add_u32 s20, s0, 8
	s_addc_u32 s21, s1, 0
.LBB0_2:                                ; =>This Inner Loop Header: Depth=1
	s_load_dwordx2 s[24:25], s[20:21], 0x0
                                        ; implicit-def: $vgpr22_vgpr23
	s_mov_b32 s0, exec_lo
	s_waitcnt lgkmcnt(0)
	v_or_b32_e32 v2, s25, v4
	v_cmpx_ne_u64_e32 0, v[1:2]
	s_xor_b32 s1, exec_lo, s0
	s_cbranch_execz .LBB0_4
; %bb.3:                                ;   in Loop: Header=BB0_2 Depth=1
	v_cvt_f32_u32_e32 v2, s24
	v_cvt_f32_u32_e32 v5, s25
	s_sub_u32 s0, 0, s24
	s_subb_u32 s26, 0, s25
	v_fmac_f32_e32 v2, 0x4f800000, v5
	v_rcp_f32_e32 v2, v2
	v_mul_f32_e32 v2, 0x5f7ffffc, v2
	v_mul_f32_e32 v5, 0x2f800000, v2
	v_trunc_f32_e32 v5, v5
	v_fmac_f32_e32 v2, 0xcf800000, v5
	v_cvt_u32_f32_e32 v5, v5
	v_cvt_u32_f32_e32 v2, v2
	v_mul_lo_u32 v6, s0, v5
	v_mul_hi_u32 v7, s0, v2
	v_mul_lo_u32 v8, s26, v2
	v_add_nc_u32_e32 v6, v7, v6
	v_mul_lo_u32 v7, s0, v2
	v_add_nc_u32_e32 v6, v6, v8
	v_mul_hi_u32 v8, v2, v7
	v_mul_lo_u32 v9, v2, v6
	v_mul_hi_u32 v12, v2, v6
	v_mul_hi_u32 v13, v5, v7
	v_mul_lo_u32 v7, v5, v7
	v_mul_hi_u32 v14, v5, v6
	v_mul_lo_u32 v6, v5, v6
	v_add_co_u32 v8, vcc_lo, v8, v9
	v_add_co_ci_u32_e32 v9, vcc_lo, 0, v12, vcc_lo
	v_add_co_u32 v7, vcc_lo, v8, v7
	v_add_co_ci_u32_e32 v7, vcc_lo, v9, v13, vcc_lo
	v_add_co_ci_u32_e32 v8, vcc_lo, 0, v14, vcc_lo
	v_add_co_u32 v6, vcc_lo, v7, v6
	v_add_co_ci_u32_e32 v7, vcc_lo, 0, v8, vcc_lo
	v_add_co_u32 v2, vcc_lo, v2, v6
	v_add_co_ci_u32_e32 v5, vcc_lo, v5, v7, vcc_lo
	v_mul_hi_u32 v6, s0, v2
	v_mul_lo_u32 v8, s26, v2
	v_mul_lo_u32 v7, s0, v5
	v_add_nc_u32_e32 v6, v6, v7
	v_mul_lo_u32 v7, s0, v2
	v_add_nc_u32_e32 v6, v6, v8
	v_mul_hi_u32 v8, v2, v7
	v_mul_lo_u32 v9, v2, v6
	v_mul_hi_u32 v12, v2, v6
	v_mul_hi_u32 v13, v5, v7
	v_mul_lo_u32 v7, v5, v7
	v_mul_hi_u32 v14, v5, v6
	v_mul_lo_u32 v6, v5, v6
	v_add_co_u32 v8, vcc_lo, v8, v9
	v_add_co_ci_u32_e32 v9, vcc_lo, 0, v12, vcc_lo
	v_add_co_u32 v7, vcc_lo, v8, v7
	v_add_co_ci_u32_e32 v7, vcc_lo, v9, v13, vcc_lo
	v_add_co_ci_u32_e32 v8, vcc_lo, 0, v14, vcc_lo
	v_add_co_u32 v6, vcc_lo, v7, v6
	v_add_co_ci_u32_e32 v7, vcc_lo, 0, v8, vcc_lo
	v_add_co_u32 v2, vcc_lo, v2, v6
	v_add_co_ci_u32_e32 v9, vcc_lo, v5, v7, vcc_lo
	v_mul_hi_u32 v14, v3, v2
	v_mad_u64_u32 v[7:8], null, v4, v2, 0
	v_mad_u64_u32 v[5:6], null, v3, v9, 0
	;; [unrolled: 1-line block ×3, first 2 shown]
	v_add_co_u32 v2, vcc_lo, v14, v5
	v_add_co_ci_u32_e32 v5, vcc_lo, 0, v6, vcc_lo
	v_add_co_u32 v2, vcc_lo, v2, v7
	v_add_co_ci_u32_e32 v2, vcc_lo, v5, v8, vcc_lo
	v_add_co_ci_u32_e32 v5, vcc_lo, 0, v13, vcc_lo
	v_add_co_u32 v2, vcc_lo, v2, v12
	v_add_co_ci_u32_e32 v7, vcc_lo, 0, v5, vcc_lo
	v_mul_lo_u32 v8, s25, v2
	v_mad_u64_u32 v[5:6], null, s24, v2, 0
	v_mul_lo_u32 v9, s24, v7
	v_sub_co_u32 v5, vcc_lo, v3, v5
	v_add3_u32 v6, v6, v9, v8
	v_sub_nc_u32_e32 v8, v4, v6
	v_subrev_co_ci_u32_e64 v8, s0, s25, v8, vcc_lo
	v_add_co_u32 v9, s0, v2, 2
	v_add_co_ci_u32_e64 v12, s0, 0, v7, s0
	v_sub_co_u32 v13, s0, v5, s24
	v_sub_co_ci_u32_e32 v6, vcc_lo, v4, v6, vcc_lo
	v_subrev_co_ci_u32_e64 v8, s0, 0, v8, s0
	v_cmp_le_u32_e32 vcc_lo, s24, v13
	v_cmp_eq_u32_e64 s0, s25, v6
	v_cndmask_b32_e64 v13, 0, -1, vcc_lo
	v_cmp_le_u32_e32 vcc_lo, s25, v8
	v_cndmask_b32_e64 v14, 0, -1, vcc_lo
	v_cmp_le_u32_e32 vcc_lo, s24, v5
	;; [unrolled: 2-line block ×3, first 2 shown]
	v_cndmask_b32_e64 v15, 0, -1, vcc_lo
	v_cmp_eq_u32_e32 vcc_lo, s25, v8
	v_cndmask_b32_e64 v5, v15, v5, s0
	v_cndmask_b32_e32 v8, v14, v13, vcc_lo
	v_add_co_u32 v13, vcc_lo, v2, 1
	v_add_co_ci_u32_e32 v14, vcc_lo, 0, v7, vcc_lo
	v_cmp_ne_u32_e32 vcc_lo, 0, v8
	v_cndmask_b32_e32 v6, v14, v12, vcc_lo
	v_cndmask_b32_e32 v8, v13, v9, vcc_lo
	v_cmp_ne_u32_e32 vcc_lo, 0, v5
	v_cndmask_b32_e32 v23, v7, v6, vcc_lo
	v_cndmask_b32_e32 v22, v2, v8, vcc_lo
.LBB0_4:                                ;   in Loop: Header=BB0_2 Depth=1
	s_andn2_saveexec_b32 s0, s1
	s_cbranch_execz .LBB0_6
; %bb.5:                                ;   in Loop: Header=BB0_2 Depth=1
	v_cvt_f32_u32_e32 v2, s24
	s_sub_i32 s1, 0, s24
	v_mov_b32_e32 v23, v1
	v_rcp_iflag_f32_e32 v2, v2
	v_mul_f32_e32 v2, 0x4f7ffffe, v2
	v_cvt_u32_f32_e32 v2, v2
	v_mul_lo_u32 v5, s1, v2
	v_mul_hi_u32 v5, v2, v5
	v_add_nc_u32_e32 v2, v2, v5
	v_mul_hi_u32 v2, v3, v2
	v_mul_lo_u32 v5, v2, s24
	v_add_nc_u32_e32 v6, 1, v2
	v_sub_nc_u32_e32 v5, v3, v5
	v_subrev_nc_u32_e32 v7, s24, v5
	v_cmp_le_u32_e32 vcc_lo, s24, v5
	v_cndmask_b32_e32 v5, v5, v7, vcc_lo
	v_cndmask_b32_e32 v2, v2, v6, vcc_lo
	v_cmp_le_u32_e32 vcc_lo, s24, v5
	v_add_nc_u32_e32 v6, 1, v2
	v_cndmask_b32_e32 v22, v2, v6, vcc_lo
.LBB0_6:                                ;   in Loop: Header=BB0_2 Depth=1
	s_or_b32 exec_lo, exec_lo, s0
	v_mul_lo_u32 v2, v23, s24
	v_mul_lo_u32 v7, v22, s25
	s_load_dwordx2 s[0:1], s[6:7], 0x0
	v_mad_u64_u32 v[5:6], null, v22, s24, 0
	s_load_dwordx2 s[24:25], s[2:3], 0x0
	s_add_u32 s22, s22, 1
	s_addc_u32 s23, s23, 0
	s_add_u32 s2, s2, 8
	s_addc_u32 s3, s3, 0
	s_add_u32 s6, s6, 8
	v_add3_u32 v2, v6, v7, v2
	v_sub_co_u32 v3, vcc_lo, v3, v5
	s_addc_u32 s7, s7, 0
	s_add_u32 s20, s20, 8
	v_sub_co_ci_u32_e32 v2, vcc_lo, v4, v2, vcc_lo
	s_addc_u32 s21, s21, 0
	s_waitcnt lgkmcnt(0)
	v_mul_lo_u32 v4, s0, v2
	v_mul_lo_u32 v5, s1, v3
	v_mad_u64_u32 v[10:11], null, s0, v3, v[10:11]
	v_mul_lo_u32 v2, s24, v2
	v_mul_lo_u32 v6, s25, v3
	v_mad_u64_u32 v[20:21], null, s24, v3, v[20:21]
	v_cmp_ge_u64_e64 s0, s[22:23], s[14:15]
	v_add3_u32 v11, v5, v11, v4
	v_add3_u32 v21, v6, v21, v2
	s_and_b32 vcc_lo, exec_lo, s0
	s_cbranch_vccnz .LBB0_9
; %bb.7:                                ;   in Loop: Header=BB0_2 Depth=1
	v_mov_b32_e32 v3, v22
	v_mov_b32_e32 v4, v23
	s_branch .LBB0_2
.LBB0_8:
	v_mov_b32_e32 v21, v11
	v_mov_b32_e32 v23, v4
	;; [unrolled: 1-line block ×4, first 2 shown]
.LBB0_9:
	s_load_dwordx2 s[0:1], s[4:5], 0x28
	s_lshl_b64 s[4:5], s[14:15], 3
	v_mul_hi_u32 v1, 0x1ca4b31, v0
	s_add_u32 s2, s18, s4
	s_addc_u32 s3, s19, s5
	v_mov_b32_e32 v27, 0
	s_load_dwordx2 s[2:3], s[2:3], 0x0
	v_mov_b32_e32 v24, 0
	v_mov_b32_e32 v26, 0
                                        ; implicit-def: $vgpr33
                                        ; implicit-def: $vgpr31
                                        ; implicit-def: $vgpr17
                                        ; implicit-def: $vgpr13
                                        ; implicit-def: $vgpr7
                                        ; implicit-def: $vgpr3
                                        ; implicit-def: $vgpr29
                                        ; implicit-def: $vgpr19
                                        ; implicit-def: $vgpr15
                                        ; implicit-def: $vgpr9
                                        ; implicit-def: $vgpr5
	v_mul_u32_u24_e32 v1, 0x8f, v1
	v_sub_nc_u32_e32 v25, v0, v1
                                        ; implicit-def: $vgpr1
	s_waitcnt lgkmcnt(0)
	v_cmp_gt_u64_e32 vcc_lo, s[0:1], v[22:23]
	s_and_saveexec_b32 s1, vcc_lo
	s_cbranch_execz .LBB0_13
; %bb.10:
	v_mov_b32_e32 v26, 0
	v_mov_b32_e32 v27, 0
	s_mov_b32 s6, exec_lo
                                        ; implicit-def: $vgpr4
                                        ; implicit-def: $vgpr8
                                        ; implicit-def: $vgpr14
                                        ; implicit-def: $vgpr18
                                        ; implicit-def: $vgpr28
                                        ; implicit-def: $vgpr0
                                        ; implicit-def: $vgpr2
                                        ; implicit-def: $vgpr6
                                        ; implicit-def: $vgpr12
                                        ; implicit-def: $vgpr16
                                        ; implicit-def: $vgpr30
                                        ; implicit-def: $vgpr32
	v_cmpx_gt_u32_e32 0x6e, v25
	s_cbranch_execz .LBB0_12
; %bb.11:
	s_add_u32 s4, s16, s4
	s_addc_u32 s5, s17, s5
	v_mov_b32_e32 v26, 0
	s_load_dwordx2 s[4:5], s[4:5], 0x0
	s_waitcnt lgkmcnt(0)
	v_mul_lo_u32 v2, s5, v22
	v_mul_lo_u32 v3, s4, v23
	v_mad_u64_u32 v[0:1], null, s4, v22, 0
	v_add3_u32 v1, v1, v3, v2
	v_lshlrev_b64 v[2:3], 3, v[10:11]
	v_lshlrev_b64 v[0:1], 3, v[0:1]
	v_add_co_u32 v4, s0, s8, v0
	v_add_co_ci_u32_e64 v5, s0, s9, v1, s0
	v_lshlrev_b64 v[0:1], 3, v[25:26]
	v_add_co_u32 v2, s0, v4, v2
	v_add_co_ci_u32_e64 v3, s0, v5, v3, s0
	v_add_co_u32 v0, s0, v2, v0
	v_add_co_ci_u32_e64 v1, s0, v3, v1, s0
	;; [unrolled: 2-line block ×7, first 2 shown]
	s_clause 0xc
	global_load_dwordx2 v[26:27], v[0:1], off
	global_load_dwordx2 v[32:33], v[0:1], off offset:880
	global_load_dwordx2 v[30:31], v[0:1], off offset:1760
	;; [unrolled: 1-line block ×12, first 2 shown]
.LBB0_12:
	s_or_b32 exec_lo, exec_lo, s6
	v_mov_b32_e32 v24, v25
.LBB0_13:
	s_or_b32 exec_lo, exec_lo, s1
	s_waitcnt vmcnt(11)
	v_add_f32_e32 v10, v26, v32
	v_add_f32_e32 v11, v27, v33
	s_waitcnt vmcnt(0)
	v_sub_f32_e32 v39, v33, v1
	v_add_f32_e32 v34, v32, v0
	v_sub_f32_e32 v48, v32, v0
	v_add_f32_e32 v10, v10, v30
	v_add_f32_e32 v11, v11, v31
	;; [unrolled: 1-line block ×3, first 2 shown]
	v_sub_f32_e32 v53, v30, v28
	v_sub_f32_e32 v45, v31, v29
	v_add_f32_e32 v10, v10, v16
	v_add_f32_e32 v11, v11, v17
	v_mul_f32_e32 v30, 0xbeedf032, v39
	v_add_f32_e32 v35, v33, v1
	v_add_f32_e32 v33, v31, v29
	;; [unrolled: 1-line block ×4, first 2 shown]
	v_mul_f32_e32 v40, 0xbeedf032, v48
	v_mul_f32_e32 v41, 0xbf52af12, v39
	v_mul_f32_e32 v46, 0xbf52af12, v48
	v_add_f32_e32 v10, v10, v6
	v_add_f32_e32 v11, v11, v7
	v_mul_f32_e32 v31, 0xbf52af12, v45
	v_fma_f32 v42, 0x3f62ad3f, v34, -v30
	v_sub_f32_e32 v60, v16, v18
	v_add_f32_e32 v10, v10, v2
	v_add_f32_e32 v11, v11, v3
	v_mul_f32_e32 v37, 0xbf52af12, v53
	v_mul_f32_e32 v38, 0xbf6f5d39, v45
	v_fmamk_f32 v43, v35, 0x3f62ad3f, v40
	v_add_f32_e32 v10, v10, v4
	v_add_f32_e32 v11, v11, v5
	v_fma_f32 v49, 0x3f116cb1, v34, -v41
	v_fmamk_f32 v50, v35, 0x3f116cb1, v46
	v_fma_f32 v51, 0x3f116cb1, v32, -v31
	v_add_f32_e32 v10, v8, v10
	v_add_f32_e32 v11, v9, v11
	;; [unrolled: 1-line block ×4, first 2 shown]
	v_fmamk_f32 v52, v33, 0x3f116cb1, v37
	v_add_f32_e32 v10, v14, v10
	v_add_f32_e32 v11, v15, v11
	;; [unrolled: 1-line block ×3, first 2 shown]
	v_sub_f32_e32 v71, v12, v14
	v_sub_f32_e32 v16, v17, v19
	v_add_f32_e32 v10, v18, v10
	v_add_f32_e32 v11, v19, v11
	v_fma_f32 v18, 0xbeb58ec6, v32, -v38
	v_add_f32_e32 v56, v13, v15
	v_mul_f32_e32 v47, 0xbf6f5d39, v53
	v_add_f32_e32 v10, v28, v10
	v_add_f32_e32 v11, v29, v11
	;; [unrolled: 1-line block ×6, first 2 shown]
	v_mul_f32_e32 v42, 0xbf7e222b, v60
	v_add_f32_e32 v19, v43, v52
	v_add_f32_e32 v18, v28, v18
	v_mul_f32_e32 v51, 0xbf6f5d39, v71
	v_mul_f32_e32 v36, 0xbf7e222b, v16
	v_fmamk_f32 v28, v49, 0x3df6dbef, v42
	v_mul_f32_e32 v43, 0xbe750f2a, v16
	v_sub_f32_e32 v17, v13, v15
	v_add_f32_e32 v0, v0, v10
	v_add_f32_e32 v1, v1, v11
	;; [unrolled: 1-line block ×3, first 2 shown]
	v_fmamk_f32 v19, v56, 0xbeb58ec6, v51
	v_fmamk_f32 v10, v33, 0xbeb58ec6, v47
	v_fma_f32 v11, 0x3df6dbef, v44, -v36
	v_mul_f32_e32 v55, 0xbe750f2a, v60
	v_add_f32_e32 v54, v12, v14
	v_fma_f32 v12, 0xbf788fa5, v44, -v43
	v_add_f32_e32 v13, v13, v19
	v_sub_f32_e32 v19, v6, v8
	v_add_f32_e32 v10, v29, v10
	v_add_f32_e32 v11, v50, v11
	v_mul_f32_e32 v50, 0xbf6f5d39, v17
	v_fmamk_f32 v14, v49, 0xbf788fa5, v55
	v_add_f32_e32 v12, v18, v12
	v_sub_f32_e32 v18, v7, v9
	v_mul_f32_e32 v62, 0x3f29c268, v71
	v_add_f32_e32 v63, v7, v9
	v_mul_f32_e32 v58, 0xbf29c268, v19
	v_fma_f32 v15, 0xbeb58ec6, v54, -v50
	v_add_f32_e32 v10, v10, v14
	v_add_f32_e32 v61, v6, v8
	v_mul_f32_e32 v57, 0xbf29c268, v18
	v_fmamk_f32 v6, v56, 0xbf3f9e67, v62
	v_fmamk_f32 v9, v63, 0xbf3f9e67, v58
	v_sub_f32_e32 v72, v3, v5
	v_mul_f32_e32 v52, 0x3f29c268, v17
	v_add_f32_e32 v11, v11, v15
	v_fma_f32 v7, 0xbf3f9e67, v61, -v57
	v_add_f32_e32 v6, v10, v6
	v_add_f32_e32 v9, v13, v9
	v_mul_f32_e32 v68, 0x3f7e222b, v19
	v_add_f32_e32 v67, v2, v4
	v_mul_f32_e32 v64, 0xbe750f2a, v72
	v_mul_f32_e32 v10, 0x3df6dbef, v34
	v_sub_f32_e32 v13, v2, v4
	v_fma_f32 v14, 0xbf3f9e67, v54, -v52
	v_mul_f32_e32 v59, 0x3f7e222b, v18
	v_add_f32_e32 v7, v11, v7
	v_add_f32_e32 v70, v3, v5
	v_fmamk_f32 v2, v63, 0x3df6dbef, v68
	v_fma_f32 v3, 0xbf788fa5, v67, -v64
	v_fmamk_f32 v4, v39, 0x3f7e222b, v10
	v_mul_f32_e32 v11, 0xbf788fa5, v32
	v_mul_f32_e32 v65, 0xbe750f2a, v13
	v_add_f32_e32 v8, v12, v14
	v_fma_f32 v12, 0x3df6dbef, v61, -v59
	v_add_f32_e32 v5, v6, v2
	v_add_f32_e32 v2, v7, v3
	;; [unrolled: 1-line block ×3, first 2 shown]
	v_fmamk_f32 v4, v45, 0x3e750f2a, v11
	v_mul_f32_e32 v7, 0xbeb58ec6, v44
	v_fmamk_f32 v6, v70, 0xbf788fa5, v65
	v_add_f32_e32 v8, v8, v12
	v_mul_f32_e32 v14, 0x3f62ad3f, v54
	v_add_f32_e32 v4, v3, v4
	v_fmamk_f32 v12, v16, 0xbf6f5d39, v7
	v_add_f32_e32 v3, v9, v6
	v_mul_f32_e32 v9, 0xbf7e222b, v48
	v_mul_f32_e32 v66, 0x3eedf032, v72
	;; [unrolled: 1-line block ×3, first 2 shown]
	v_add_f32_e32 v4, v4, v12
	v_fmamk_f32 v12, v17, 0xbeedf032, v14
	v_fmamk_f32 v28, v35, 0x3df6dbef, v9
	v_mul_f32_e32 v29, 0xbe750f2a, v53
	v_fma_f32 v6, 0x3f62ad3f, v67, -v66
	v_fmamk_f32 v74, v18, 0x3f52af12, v15
	v_add_f32_e32 v12, v4, v12
	v_add_f32_e32 v28, v27, v28
	v_fmamk_f32 v75, v33, 0xbf788fa5, v29
	v_mul_f32_e32 v76, 0x3f6f5d39, v60
	v_add_f32_e32 v4, v8, v6
	v_add_f32_e32 v6, v12, v74
	v_mul_f32_e32 v74, 0x3eedf032, v71
	v_add_f32_e32 v12, v28, v75
	v_fmamk_f32 v28, v49, 0xbeb58ec6, v76
	v_fmac_f32_e32 v10, 0xbf7e222b, v39
	v_mul_f32_e32 v69, 0x3eedf032, v13
	v_fma_f32 v9, 0x3df6dbef, v35, -v9
	v_fmac_f32_e32 v11, 0xbe750f2a, v45
	v_add_f32_e32 v12, v12, v28
	v_fmamk_f32 v28, v56, 0x3f62ad3f, v74
	v_add_f32_e32 v10, v26, v10
	v_fmamk_f32 v73, v70, 0x3f62ad3f, v69
	v_add_f32_e32 v9, v27, v9
	v_fma_f32 v29, 0xbf788fa5, v33, -v29
	v_add_f32_e32 v12, v12, v28
	v_mul_f32_e32 v28, 0xbf52af12, v19
	v_add_f32_e32 v10, v10, v11
	v_fmac_f32_e32 v7, 0x3f6f5d39, v16
	v_add_f32_e32 v5, v5, v73
	v_mul_f32_e32 v73, 0xbf29c268, v13
	v_fmamk_f32 v11, v63, 0x3f116cb1, v28
	v_add_f32_e32 v9, v9, v29
	v_fma_f32 v29, 0xbeb58ec6, v49, -v76
	v_add_f32_e32 v7, v10, v7
	v_fmac_f32_e32 v14, 0x3eedf032, v17
	v_mul_f32_e32 v8, 0xbf3f9e67, v67
	v_add_f32_e32 v10, v12, v11
	v_fmamk_f32 v11, v70, 0xbf3f9e67, v73
	v_add_f32_e32 v9, v9, v29
	v_fma_f32 v12, 0x3f62ad3f, v56, -v74
	v_add_f32_e32 v14, v7, v14
	v_fmac_f32_e32 v15, 0xbf52af12, v18
	v_mul_f32_e32 v74, 0xbeb58ec6, v34
	v_fmamk_f32 v75, v72, 0x3f29c268, v8
	v_add_f32_e32 v7, v10, v11
	v_add_f32_e32 v9, v9, v12
	v_fma_f32 v10, 0x3f116cb1, v63, -v28
	v_add_f32_e32 v11, v14, v15
	v_fmamk_f32 v12, v39, 0x3f6f5d39, v74
	v_mul_f32_e32 v14, 0xbf3f9e67, v32
	v_mul_f32_e32 v15, 0xbf6f5d39, v48
	v_add_f32_e32 v6, v6, v75
	v_add_f32_e32 v9, v9, v10
	v_fmac_f32_e32 v8, 0xbf29c268, v72
	v_add_f32_e32 v10, v26, v12
	v_fmamk_f32 v12, v45, 0xbf29c268, v14
	v_fmamk_f32 v28, v35, 0xbeb58ec6, v15
	v_mul_f32_e32 v75, 0x3f29c268, v53
	v_mul_f32_e32 v76, 0x3f62ad3f, v44
	v_fma_f32 v29, 0xbf3f9e67, v70, -v73
	v_add_f32_e32 v10, v10, v12
	v_add_f32_e32 v12, v27, v28
	v_fmamk_f32 v73, v33, 0xbf3f9e67, v75
	v_fmamk_f32 v77, v16, 0xbeedf032, v76
	v_mul_f32_e32 v78, 0x3eedf032, v60
	v_add_f32_e32 v28, v11, v8
	v_mul_f32_e32 v11, 0x3df6dbef, v54
	v_add_f32_e32 v8, v12, v73
	v_add_f32_e32 v10, v10, v77
	v_fmamk_f32 v12, v49, 0x3f62ad3f, v78
	v_mul_f32_e32 v73, 0xbf7e222b, v71
	v_fmamk_f32 v77, v17, 0x3f7e222b, v11
	v_mul_f32_e32 v79, 0xbf788fa5, v61
	v_add_f32_e32 v29, v9, v29
	v_add_f32_e32 v8, v8, v12
	v_fmamk_f32 v9, v56, 0x3df6dbef, v73
	v_add_f32_e32 v10, v10, v77
	v_fmamk_f32 v12, v18, 0xbe750f2a, v79
	v_mul_f32_e32 v77, 0x3e750f2a, v19
	v_fmac_f32_e32 v74, 0xbf6f5d39, v39
	v_add_f32_e32 v8, v8, v9
	v_fma_f32 v9, 0xbeb58ec6, v35, -v15
	v_add_f32_e32 v10, v10, v12
	v_fmamk_f32 v12, v63, 0xbf788fa5, v77
	v_add_f32_e32 v15, v26, v74
	v_fmac_f32_e32 v14, 0x3f29c268, v45
	v_add_f32_e32 v9, v27, v9
	v_fma_f32 v74, 0xbf3f9e67, v33, -v75
	v_add_f32_e32 v12, v8, v12
	v_mul_f32_e32 v75, 0x3f116cb1, v67
	v_add_f32_e32 v8, v15, v14
	v_fmac_f32_e32 v76, 0x3eedf032, v16
	v_add_f32_e32 v9, v9, v74
	v_fma_f32 v14, 0x3f62ad3f, v49, -v78
	v_fmamk_f32 v74, v72, 0xbf52af12, v75
	v_fmac_f32_e32 v11, 0xbf7e222b, v17
	v_add_f32_e32 v76, v8, v76
	v_mul_f32_e32 v15, 0x3f52af12, v13
	v_add_f32_e32 v9, v9, v14
	v_fma_f32 v14, 0x3df6dbef, v56, -v73
	v_add_f32_e32 v8, v10, v74
	v_add_f32_e32 v10, v76, v11
	v_fmac_f32_e32 v79, 0x3e750f2a, v18
	v_fmamk_f32 v73, v70, 0x3f116cb1, v15
	v_add_f32_e32 v11, v9, v14
	v_fma_f32 v14, 0xbf788fa5, v63, -v77
	v_mul_f32_e32 v74, 0xbf3f9e67, v34
	v_add_f32_e32 v10, v10, v79
	v_fmac_f32_e32 v75, 0x3f52af12, v72
	v_add_f32_e32 v9, v12, v73
	v_add_f32_e32 v11, v11, v14
	v_fmamk_f32 v12, v39, 0x3f29c268, v74
	v_mul_f32_e32 v73, 0x3df6dbef, v32
	v_fma_f32 v15, 0x3f116cb1, v70, -v15
	v_add_f32_e32 v14, v10, v75
	v_mul_f32_e32 v10, 0xbf29c268, v48
	v_add_f32_e32 v12, v26, v12
	v_fmamk_f32 v75, v45, 0xbf7e222b, v73
	v_mul_f32_e32 v76, 0x3f116cb1, v44
	v_add_f32_e32 v15, v11, v15
	v_fmamk_f32 v11, v35, 0xbf3f9e67, v10
	v_mul_f32_e32 v77, 0x3f7e222b, v53
	v_add_f32_e32 v12, v12, v75
	v_fmamk_f32 v75, v16, 0x3f52af12, v76
	v_mul_f32_e32 v78, 0xbf788fa5, v54
	v_add_f32_e32 v11, v27, v11
	v_fmamk_f32 v79, v33, 0x3df6dbef, v77
	v_mul_f32_e32 v80, 0xbf52af12, v60
	v_add_f32_e32 v12, v12, v75
	v_fmamk_f32 v75, v17, 0xbe750f2a, v78
	v_mul_f32_e32 v81, 0x3f62ad3f, v61
	v_add_f32_e32 v11, v11, v79
	v_fmamk_f32 v79, v49, 0x3f116cb1, v80
	v_mul_f32_e32 v82, 0x3e750f2a, v71
	v_fmac_f32_e32 v74, 0xbf29c268, v39
	v_add_f32_e32 v12, v12, v75
	v_fmamk_f32 v75, v18, 0xbeedf032, v81
	v_add_f32_e32 v11, v11, v79
	v_fmamk_f32 v79, v56, 0xbf788fa5, v82
	v_mul_f32_e32 v83, 0x3eedf032, v19
	v_add_f32_e32 v74, v26, v74
	v_fmac_f32_e32 v73, 0x3f7e222b, v45
	v_add_f32_e32 v12, v12, v75
	v_mul_f32_e32 v75, 0xbeb58ec6, v67
	v_add_f32_e32 v11, v11, v79
	v_fmamk_f32 v79, v63, 0x3f62ad3f, v83
	v_add_f32_e32 v73, v74, v73
	v_fmac_f32_e32 v76, 0xbf52af12, v16
	v_mul_f32_e32 v84, 0xbf6f5d39, v13
	v_fma_f32 v10, 0xbf3f9e67, v35, -v10
	v_fmamk_f32 v74, v72, 0x3f6f5d39, v75
	v_add_f32_e32 v11, v11, v79
	v_add_f32_e32 v73, v73, v76
	v_fmac_f32_e32 v78, 0x3e750f2a, v17
	v_fmamk_f32 v76, v70, 0xbeb58ec6, v84
	v_add_f32_e32 v79, v27, v10
	v_fma_f32 v77, 0x3df6dbef, v33, -v77
	v_add_f32_e32 v10, v12, v74
	v_add_f32_e32 v12, v73, v78
	;; [unrolled: 1-line block ×3, first 2 shown]
	v_fma_f32 v74, 0x3f116cb1, v49, -v80
	v_add_f32_e32 v73, v79, v77
	v_mul_f32_e32 v76, 0xbf788fa5, v34
	v_mul_f32_e32 v48, 0xbe750f2a, v48
	v_fmac_f32_e32 v81, 0x3eedf032, v18
	v_mul_f32_e32 v77, 0x3f62ad3f, v32
	v_add_f32_e32 v73, v73, v74
	v_fmamk_f32 v74, v39, 0x3e750f2a, v76
	v_fmamk_f32 v78, v35, 0xbf788fa5, v48
	v_mul_f32_e32 v53, 0x3eedf032, v53
	v_fmac_f32_e32 v76, 0xbe750f2a, v39
	v_fma_f32 v39, 0xbf788fa5, v35, -v48
	v_add_f32_e32 v12, v12, v81
	v_fma_f32 v79, 0xbf788fa5, v56, -v82
	v_add_f32_e32 v74, v26, v74
	v_fmamk_f32 v80, v45, 0xbeedf032, v77
	v_add_f32_e32 v78, v27, v78
	v_fmamk_f32 v81, v33, 0x3f62ad3f, v53
	v_mul_f32_e32 v82, 0xbf3f9e67, v44
	v_mul_f32_e32 v60, 0xbf29c268, v60
	v_fmac_f32_e32 v77, 0x3eedf032, v45
	v_add_f32_e32 v45, v26, v76
	v_add_f32_e32 v39, v27, v39
	v_fma_f32 v53, 0x3f62ad3f, v33, -v53
	v_add_f32_e32 v73, v73, v79
	v_add_f32_e32 v74, v74, v80
	;; [unrolled: 1-line block ×3, first 2 shown]
	v_fmamk_f32 v79, v16, 0x3f29c268, v82
	v_fmamk_f32 v80, v49, 0xbf3f9e67, v60
	v_mul_f32_e32 v81, 0x3f116cb1, v54
	v_mul_f32_e32 v71, 0x3f52af12, v71
	v_add_f32_e32 v45, v45, v77
	v_fmac_f32_e32 v82, 0xbf29c268, v16
	v_add_f32_e32 v16, v39, v53
	v_fma_f32 v39, 0xbf3f9e67, v49, -v60
	v_add_f32_e32 v74, v74, v79
	v_add_f32_e32 v78, v78, v80
	v_fmamk_f32 v79, v17, 0xbf52af12, v81
	v_fmamk_f32 v80, v56, 0x3f116cb1, v71
	v_mul_f32_e32 v48, 0xbeb58ec6, v61
	v_mul_f32_e32 v19, 0xbf6f5d39, v19
	v_add_f32_e32 v45, v45, v82
	v_fmac_f32_e32 v81, 0x3f52af12, v17
	v_add_f32_e32 v16, v16, v39
	v_fma_f32 v17, 0x3f116cb1, v56, -v71
	v_fmac_f32_e32 v75, 0xbf6f5d39, v72
	v_fma_f32 v83, 0x3f62ad3f, v63, -v83
	v_add_f32_e32 v74, v74, v79
	v_add_f32_e32 v78, v78, v80
	v_fmamk_f32 v76, v18, 0x3f6f5d39, v48
	v_fmamk_f32 v79, v63, 0xbeb58ec6, v19
	v_mul_f32_e32 v13, 0x3f7e222b, v13
	v_mul_f32_e32 v39, 0x3df6dbef, v67
	v_add_f32_e32 v45, v45, v81
	v_fmac_f32_e32 v48, 0xbf6f5d39, v18
	v_add_f32_e32 v16, v16, v17
	v_fma_f32 v17, 0xbeb58ec6, v63, -v19
	v_add_f32_e32 v12, v12, v75
	v_add_f32_e32 v73, v73, v83
	v_fma_f32 v75, 0xbeb58ec6, v70, -v84
	v_add_f32_e32 v53, v74, v76
	v_add_f32_e32 v60, v78, v79
	v_fmamk_f32 v18, v72, 0xbf7e222b, v39
	v_fmamk_f32 v19, v70, 0x3df6dbef, v13
	v_add_f32_e32 v45, v45, v48
	v_fmac_f32_e32 v39, 0x3f7e222b, v72
	v_add_f32_e32 v48, v16, v17
	v_fma_f32 v71, 0x3df6dbef, v70, -v13
	v_add_f32_e32 v13, v73, v75
	v_add_f32_e32 v16, v53, v18
	;; [unrolled: 1-line block ×5, first 2 shown]
	s_mov_b32 s1, exec_lo
	v_cmpx_gt_u32_e32 0x6e, v25
	s_cbranch_execz .LBB0_15
; %bb.14:
	v_mul_f32_e32 v39, 0x3f116cb1, v35
	v_mul_f32_e32 v45, 0x3f62ad3f, v34
	;; [unrolled: 1-line block ×5, first 2 shown]
	v_sub_f32_e32 v39, v39, v46
	v_mul_f32_e32 v46, 0xbeb58ec6, v33
	v_mul_f32_e32 v33, 0x3f116cb1, v33
	;; [unrolled: 1-line block ×3, first 2 shown]
	v_add_f32_e32 v34, v41, v34
	v_sub_f32_e32 v35, v35, v40
	v_add_f32_e32 v30, v30, v45
	v_mul_f32_e32 v53, 0x3df6dbef, v44
	v_add_f32_e32 v39, v27, v39
	v_sub_f32_e32 v46, v46, v47
	v_mul_f32_e32 v47, 0xbf788fa5, v49
	v_mul_f32_e32 v49, 0x3df6dbef, v49
	v_mul_f32_e32 v44, 0xbf788fa5, v44
	v_add_f32_e32 v34, v26, v34
	v_add_f32_e32 v32, v38, v32
	v_add_f32_e32 v27, v27, v35
	v_sub_f32_e32 v33, v33, v37
	v_add_f32_e32 v26, v26, v30
	v_add_f32_e32 v30, v31, v48
	v_mul_f32_e32 v60, 0xbeb58ec6, v54
	v_add_f32_e32 v39, v39, v46
	v_sub_f32_e32 v46, v47, v55
	v_mul_f32_e32 v47, 0xbf3f9e67, v56
	v_mul_f32_e32 v55, 0xbeb58ec6, v56
	v_mul_f32_e32 v54, 0xbf3f9e67, v54
	v_add_f32_e32 v31, v34, v32
	v_add_f32_e32 v32, v43, v44
	v_add_f32_e32 v27, v27, v33
	v_sub_f32_e32 v33, v49, v42
	v_add_f32_e32 v26, v26, v30
	;; [unrolled: 12-line block ×4, first 2 shown]
	v_add_f32_e32 v30, v57, v56
	v_add_f32_e32 v39, v39, v46
	v_sub_f32_e32 v40, v68, v69
	v_add_f32_e32 v31, v31, v32
	v_add_f32_e32 v32, v66, v67
	;; [unrolled: 1-line block ×3, first 2 shown]
	v_sub_f32_e32 v34, v47, v65
	v_add_f32_e32 v30, v26, v30
	v_add_f32_e32 v35, v64, v63
	v_mad_u32_u24 v36, 0x68, v25, 0
	v_add_f32_e32 v27, v39, v40
	v_add_f32_e32 v26, v31, v32
	;; [unrolled: 1-line block ×4, first 2 shown]
	ds_write2_b64 v36, v[0:1], v[2:3] offset1:1
	ds_write2_b64 v36, v[4:5], v[6:7] offset0:2 offset1:3
	ds_write2_b64 v36, v[8:9], v[10:11] offset0:4 offset1:5
	;; [unrolled: 1-line block ×5, first 2 shown]
	ds_write_b64 v36, v[30:31] offset:96
.LBB0_15:
	s_or_b32 exec_lo, exec_lo, s1
	v_cmp_gt_u32_e64 s0, 0x82, v25
	v_lshl_add_u32 v26, v25, 3, 0
	s_waitcnt lgkmcnt(0)
	s_barrier
	buffer_gl0_inv
	s_and_saveexec_b32 s1, s0
	s_cbranch_execz .LBB0_17
; %bb.16:
	v_add_nc_u32_e32 v4, 0x800, v26
	v_add_nc_u32_e32 v8, 0x1000, v26
	;; [unrolled: 1-line block ×4, first 2 shown]
	ds_read2_b64 v[0:3], v26 offset1:130
	ds_read2_b64 v[4:7], v4 offset0:4 offset1:134
	ds_read2_b64 v[8:11], v8 offset0:8 offset1:138
	;; [unrolled: 1-line block ×4, first 2 shown]
	ds_read_b64 v[28:29], v26 offset:10400
.LBB0_17:
	s_or_b32 exec_lo, exec_lo, s1
	s_waitcnt lgkmcnt(0)
	s_barrier
	buffer_gl0_inv
	s_and_saveexec_b32 s1, s0
	s_cbranch_execz .LBB0_19
; %bb.18:
	v_and_b32_e32 v27, 0xff, v25
	v_mov_b32_e32 v31, 10
	v_mov_b32_e32 v32, 3
	v_mul_lo_u16 v27, 0x4f, v27
	v_lshrrev_b16 v27, 10, v27
	v_mul_lo_u16 v30, v27, 13
	v_sub_nc_u16 v30, v25, v30
	v_mul_u32_u24_sdwa v31, v30, v31 dst_sel:DWORD dst_unused:UNUSED_PAD src0_sel:BYTE_0 src1_sel:DWORD
	v_lshlrev_b32_sdwa v30, v32, v30 dst_sel:DWORD dst_unused:UNUSED_PAD src0_sel:DWORD src1_sel:BYTE_0
	v_lshlrev_b32_e32 v31, 3, v31
	s_clause 0x4
	global_load_dwordx4 v[37:40], v31, s[12:13] offset:64
	global_load_dwordx4 v[41:44], v31, s[12:13]
	global_load_dwordx4 v[45:48], v31, s[12:13] offset:48
	global_load_dwordx4 v[49:52], v31, s[12:13] offset:16
	;; [unrolled: 1-line block ×3, first 2 shown]
	v_mov_b32_e32 v31, 0x478
	v_mul_u32_u24_sdwa v27, v27, v31 dst_sel:DWORD dst_unused:UNUSED_PAD src0_sel:WORD_0 src1_sel:DWORD
	v_add3_u32 v27, 0, v27, v30
	s_waitcnt vmcnt(4)
	v_mul_f32_e32 v30, v28, v40
	s_waitcnt vmcnt(3)
	v_mul_f32_e32 v57, v2, v42
	v_mul_f32_e32 v42, v3, v42
	;; [unrolled: 1-line block ×3, first 2 shown]
	s_waitcnt vmcnt(2)
	v_mul_f32_e32 v32, v12, v48
	s_waitcnt vmcnt(1)
	v_mul_f32_e32 v59, v6, v50
	v_mul_f32_e32 v31, v14, v38
	;; [unrolled: 1-line block ×11, first 2 shown]
	s_waitcnt vmcnt(0)
	v_mul_f32_e32 v34, v16, v56
	v_mul_f32_e32 v35, v10, v54
	;; [unrolled: 1-line block ×4, first 2 shown]
	v_fmac_f32_e32 v30, v29, v39
	v_fmac_f32_e32 v57, v3, v41
	v_fma_f32 v29, v2, v41, -v42
	v_fma_f32 v2, v28, v39, -v40
	v_fmac_f32_e32 v32, v13, v47
	v_fmac_f32_e32 v59, v7, v49
	;; [unrolled: 1-line block ×4, first 2 shown]
	v_fma_f32 v15, v4, v43, -v44
	v_fma_f32 v3, v14, v37, -v38
	;; [unrolled: 1-line block ×4, first 2 shown]
	v_fmac_f32_e32 v33, v19, v45
	v_fmac_f32_e32 v36, v9, v51
	v_fma_f32 v8, v8, v51, -v52
	v_fma_f32 v5, v18, v45, -v46
	v_fmac_f32_e32 v34, v17, v55
	v_fmac_f32_e32 v35, v11, v53
	v_fma_f32 v7, v10, v53, -v54
	v_fma_f32 v6, v16, v55, -v56
	v_add_f32_e32 v9, v57, v30
	v_sub_f32_e32 v10, v29, v2
	v_add_f32_e32 v14, v59, v32
	v_add_f32_e32 v37, v29, v2
	v_sub_f32_e32 v38, v57, v30
	v_add_f32_e32 v43, v1, v57
	v_add_f32_e32 v29, v0, v29
	;; [unrolled: 1-line block ×3, first 2 shown]
	v_sub_f32_e32 v12, v15, v3
	v_sub_f32_e32 v16, v13, v4
	v_add_f32_e32 v17, v36, v33
	v_sub_f32_e32 v18, v8, v5
	v_add_f32_e32 v19, v35, v34
	;; [unrolled: 2-line block ×3, first 2 shown]
	v_sub_f32_e32 v40, v58, v31
	v_sub_f32_e32 v42, v59, v32
	;; [unrolled: 1-line block ×4, first 2 shown]
	v_mul_f32_e32 v48, 0xbf75a155, v9
	v_mul_f32_e32 v50, 0xbf27a4f4, v14
	;; [unrolled: 1-line block ×11, first 2 shown]
	v_add_f32_e32 v43, v43, v58
	v_add_f32_e32 v15, v29, v15
	;; [unrolled: 1-line block ×5, first 2 shown]
	v_mul_f32_e32 v49, 0x3f575c64, v11
	v_mul_f32_e32 v51, 0x3ed4b147, v17
	;; [unrolled: 1-line block ×39, first 2 shown]
	v_fmamk_f32 v93, v10, 0x3e903f40, v48
	v_fmamk_f32 v95, v16, 0x3f4178ce, v50
	v_fmamk_f32 v98, v37, 0xbf75a155, v53
	v_fmac_f32_e32 v48, 0xbe903f40, v10
	v_fmac_f32_e32 v50, 0xbf4178ce, v16
	v_fma_f32 v10, 0xbf75a155, v37, -v53
	v_fmamk_f32 v16, v9, 0xbf27a4f4, v55
	v_fma_f32 v100, 0xbf27a4f4, v37, -v62
	v_fmamk_f32 v102, v9, 0xbe11bafb, v64
	;; [unrolled: 2-line block ×4, first 2 shown]
	v_fma_f32 v55, 0xbf27a4f4, v9, -v55
	v_fma_f32 v64, 0xbe11bafb, v9, -v64
	;; [unrolled: 1-line block ×5, first 2 shown]
	v_add_f32_e32 v43, v43, v59
	v_add_f32_e32 v13, v15, v13
	v_fmamk_f32 v94, v12, 0xbf0a6770, v49
	v_fmamk_f32 v96, v18, 0xbf68dda4, v51
	;; [unrolled: 1-line block ×4, first 2 shown]
	v_fmac_f32_e32 v49, 0x3f0a6770, v12
	v_fmac_f32_e32 v51, 0x3f68dda4, v18
	;; [unrolled: 1-line block ×3, first 2 shown]
	v_fma_f32 v12, 0x3f575c64, v39, -v54
	v_fmamk_f32 v18, v11, 0xbe11bafb, v56
	v_fmamk_f32 v28, v14, 0x3f575c64, v57
	;; [unrolled: 1-line block ×4, first 2 shown]
	v_fma_f32 v101, 0xbe11bafb, v39, -v63
	v_fmamk_f32 v103, v11, 0xbf75a155, v65
	v_fmamk_f32 v104, v14, 0x3ed4b147, v66
	;; [unrolled: 1-line block ×4, first 2 shown]
	v_fmac_f32_e32 v62, 0xbf27a4f4, v37
	v_fmac_f32_e32 v69, 0xbe11bafb, v37
	;; [unrolled: 1-line block ×4, first 2 shown]
	v_fma_f32 v37, 0xbf75a155, v39, -v70
	v_fmamk_f32 v111, v11, 0xbf27a4f4, v72
	v_fmamk_f32 v112, v14, 0xbf75a155, v73
	;; [unrolled: 1-line block ×4, first 2 shown]
	v_fma_f32 v59, 0xbf27a4f4, v39, -v77
	v_fmamk_f32 v15, v11, 0x3ed4b147, v79
	v_fma_f32 v56, 0xbe11bafb, v11, -v56
	v_fma_f32 v65, 0xbf75a155, v11, -v65
	v_fma_f32 v72, 0xbf27a4f4, v11, -v72
	v_fma_f32 v11, 0x3ed4b147, v11, -v79
	v_fmamk_f32 v79, v14, 0xbe11bafb, v80
	v_fma_f32 v57, 0x3f575c64, v14, -v57
	v_fma_f32 v66, 0x3ed4b147, v14, -v66
	v_fma_f32 v73, 0xbf75a155, v14, -v73
	;; [unrolled: 5-line block ×4, first 2 shown]
	v_fma_f32 v19, 0xbf75a155, v19, -v82
	v_fma_f32 v82, 0x3ed4b147, v39, -v40
	v_fmac_f32_e32 v63, 0xbe11bafb, v39
	v_fmac_f32_e32 v70, 0xbf75a155, v39
	;; [unrolled: 1-line block ×4, first 2 shown]
	v_fmamk_f32 v39, v41, 0xbf27a4f4, v29
	v_fma_f32 v29, 0xbf27a4f4, v41, -v29
	v_fma_f32 v115, 0x3f575c64, v41, -v58
	v_fmac_f32_e32 v58, 0x3f575c64, v41
	v_fma_f32 v116, 0x3ed4b147, v41, -v83
	v_fmac_f32_e32 v83, 0x3ed4b147, v41
	v_fma_f32 v117, 0xbf75a155, v41, -v84
	v_fmac_f32_e32 v84, 0xbf75a155, v41
	v_fma_f32 v118, 0xbe11bafb, v41, -v42
	v_fmac_f32_e32 v42, 0xbe11bafb, v41
	v_fmamk_f32 v41, v45, 0x3ed4b147, v85
	v_fma_f32 v85, 0x3ed4b147, v45, -v85
	v_fma_f32 v119, 0xbf75a155, v45, -v86
	v_fmac_f32_e32 v86, 0xbf75a155, v45
	v_fma_f32 v120, 0x3f575c64, v45, -v87
	v_fmac_f32_e32 v87, 0x3f575c64, v45
	v_fma_f32 v121, 0xbe11bafb, v45, -v88
	v_fmac_f32_e32 v88, 0xbe11bafb, v45
	v_fma_f32 v122, 0xbf27a4f4, v45, -v44
	v_fmac_f32_e32 v44, 0xbf27a4f4, v45
	;; [unrolled: 10-line block ×3, first 2 shown]
	v_add_f32_e32 v47, v1, v93
	v_add_f32_e32 v93, v0, v98
	;; [unrolled: 1-line block ×114, first 2 shown]
	ds_write2_b64 v27, v[11:12], v[9:10] offset0:26 offset1:39
	ds_write2_b64 v27, v[7:8], v[5:6] offset0:52 offset1:65
	;; [unrolled: 1-line block ×4, first 2 shown]
	ds_write2_b64 v27, v[30:31], v[13:14] offset1:13
	ds_write_b64 v27, v[28:29] offset:1040
.LBB0_19:
	s_or_b32 exec_lo, exec_lo, s1
	s_waitcnt lgkmcnt(0)
	s_barrier
	buffer_gl0_inv
	s_and_saveexec_b32 s0, vcc_lo
	s_cbranch_execz .LBB0_21
; %bb.20:
	v_mul_u32_u24_e32 v0, 9, v25
	v_mul_lo_u32 v17, s2, v23
	v_mov_b32_e32 v25, 0
	v_lshlrev_b64 v[32:33], 3, v[20:21]
	v_add_nc_u32_e32 v27, 0x800, v26
	v_lshlrev_b32_e32 v16, 3, v0
	v_add_nc_u32_e32 v34, 0x2200, v26
	v_lshlrev_b64 v[24:25], 3, v[24:25]
	v_add_nc_u32_e32 v35, 0x1800, v26
	v_add_nc_u32_e32 v28, 0x1000, v26
	s_clause 0x4
	global_load_dwordx4 v[0:3], v16, s[12:13] offset:1040
	global_load_dwordx4 v[4:7], v16, s[12:13] offset:1056
	global_load_dwordx4 v[8:11], v16, s[12:13] offset:1088
	global_load_dwordx4 v[12:15], v16, s[12:13] offset:1072
	global_load_dwordx2 v[38:39], v16, s[12:13] offset:1104
	v_mul_lo_u32 v16, s3, v22
	v_mad_u64_u32 v[22:23], null, s2, v22, 0
	v_add3_u32 v23, v23, v17, v16
	ds_read2_b64 v[16:19], v26 offset1:143
	v_lshlrev_b64 v[30:31], 3, v[22:23]
	ds_read2_b64 v[20:23], v27 offset0:30 offset1:173
	ds_read2_b64 v[26:29], v28 offset0:60 offset1:203
	v_add_co_u32 v30, vcc_lo, s10, v30
	v_add_co_ci_u32_e32 v31, vcc_lo, s11, v31, vcc_lo
	v_add_co_u32 v36, vcc_lo, v30, v32
	v_add_co_ci_u32_e32 v37, vcc_lo, v31, v33, vcc_lo
	ds_read2_b64 v[30:33], v34 offset0:56 offset1:199
	v_add_co_u32 v24, vcc_lo, v36, v24
	v_add_co_ci_u32_e32 v25, vcc_lo, v37, v25, vcc_lo
	ds_read2_b64 v[34:37], v35 offset0:90 offset1:233
	v_add_co_u32 v40, vcc_lo, 0x800, v24
	v_add_co_ci_u32_e32 v41, vcc_lo, 0, v25, vcc_lo
	v_add_co_u32 v42, vcc_lo, 0x1000, v24
	v_add_co_ci_u32_e32 v43, vcc_lo, 0, v25, vcc_lo
	;; [unrolled: 2-line block ×5, first 2 shown]
	s_waitcnt vmcnt(4) lgkmcnt(3)
	v_mul_f32_e32 v50, v2, v21
	s_waitcnt vmcnt(3) lgkmcnt(2)
	v_mul_f32_e32 v51, v6, v27
	;; [unrolled: 2-line block ×4, first 2 shown]
	v_mul_f32_e32 v31, v11, v31
	v_mul_f32_e32 v54, v5, v23
	;; [unrolled: 1-line block ×3, first 2 shown]
	s_waitcnt vmcnt(0)
	v_mul_f32_e32 v56, v39, v33
	v_mul_f32_e32 v57, v9, v37
	v_mul_f32_e32 v29, v12, v29
	v_mul_f32_e32 v37, v8, v37
	v_mul_f32_e32 v23, v4, v23
	v_mul_f32_e32 v33, v38, v33
	v_mul_f32_e32 v27, v7, v27
	v_mul_f32_e32 v35, v15, v35
	v_mul_f32_e32 v21, v3, v21
	v_mul_f32_e32 v58, v1, v19
	v_mul_f32_e32 v19, v0, v19
	v_fmac_f32_e32 v50, v3, v20
	v_fmac_f32_e32 v51, v7, v26
	;; [unrolled: 1-line block ×4, first 2 shown]
	v_fma_f32 v7, v30, v10, -v31
	v_fma_f32 v4, v4, v22, -v54
	v_fma_f32 v10, v12, v28, -v55
	v_fma_f32 v11, v38, v32, -v56
	v_fma_f32 v8, v8, v36, -v57
	v_fmac_f32_e32 v29, v13, v28
	v_fmac_f32_e32 v37, v36, v9
	;; [unrolled: 1-line block ×4, first 2 shown]
	v_fma_f32 v3, v6, v26, -v27
	v_fma_f32 v6, v34, v14, -v35
	;; [unrolled: 1-line block ×4, first 2 shown]
	v_fmac_f32_e32 v19, v1, v18
	v_sub_f32_e32 v1, v50, v51
	v_sub_f32_e32 v5, v52, v53
	v_add_f32_e32 v13, v51, v53
	v_sub_f32_e32 v14, v4, v10
	v_sub_f32_e32 v15, v11, v8
	v_add_f32_e32 v18, v10, v8
	v_add_f32_e32 v30, v29, v37
	v_sub_f32_e32 v22, v23, v29
	v_sub_f32_e32 v26, v33, v37
	v_add_f32_e32 v38, v4, v11
	v_add_f32_e32 v55, v23, v33
	v_sub_f32_e32 v12, v2, v7
	v_sub_f32_e32 v20, v23, v33
	;; [unrolled: 1-line block ×3, first 2 shown]
	v_add_f32_e32 v34, v50, v52
	v_sub_f32_e32 v35, v10, v4
	v_sub_f32_e32 v57, v2, v3
	;; [unrolled: 1-line block ×3, first 2 shown]
	v_add_f32_e32 v63, v2, v7
	v_add_f32_e32 v2, v2, v16
	;; [unrolled: 1-line block ×4, first 2 shown]
	v_fma_f32 v64, -0.5, v13, v17
	v_add_f32_e32 v5, v14, v15
	v_fma_f32 v13, -0.5, v18, v0
	v_fma_f32 v15, -0.5, v30, v19
	v_sub_f32_e32 v21, v29, v37
	v_sub_f32_e32 v27, v10, v8
	;; [unrolled: 1-line block ×4, first 2 shown]
	v_add_f32_e32 v56, v50, v17
	v_add_f32_e32 v23, v23, v19
	;; [unrolled: 1-line block ×3, first 2 shown]
	v_fma_f32 v26, -0.5, v38, v0
	v_fma_f32 v19, -0.5, v55, v19
	v_sub_f32_e32 v9, v3, v6
	v_sub_f32_e32 v31, v51, v50
	v_sub_f32_e32 v32, v53, v52
	v_add_f32_e32 v59, v3, v6
	v_fma_f32 v17, -0.5, v34, v17
	v_add_f32_e32 v2, v3, v2
	v_add_f32_e32 v3, v10, v4
	v_fmamk_f32 v4, v20, 0xbf737871, v13
	v_fmamk_f32 v34, v28, 0x3f737871, v15
	v_fmac_f32_e32 v15, 0xbf737871, v28
	v_fmac_f32_e32 v13, 0x3f737871, v20
	v_sub_f32_e32 v54, v37, v33
	v_add_f32_e32 v22, v35, v36
	v_add_f32_e32 v30, v51, v56
	;; [unrolled: 1-line block ×3, first 2 shown]
	v_fmamk_f32 v36, v21, 0x3f737871, v26
	v_fmamk_f32 v38, v27, 0xbf737871, v19
	v_fmac_f32_e32 v19, 0x3f737871, v27
	v_fmac_f32_e32 v26, 0xbf737871, v21
	v_sub_f32_e32 v50, v50, v52
	v_add_f32_e32 v18, v31, v32
	v_fma_f32 v31, -0.5, v59, v16
	v_fmac_f32_e32 v15, 0xbf167918, v27
	v_fmac_f32_e32 v13, 0x3f167918, v21
	v_sub_f32_e32 v60, v51, v53
	v_add_f32_e32 v0, v39, v54
	v_fma_f32 v16, -0.5, v63, v16
	v_fmamk_f32 v10, v12, 0x3f737871, v64
	v_fmamk_f32 v35, v9, 0xbf737871, v17
	v_fmac_f32_e32 v17, 0x3f737871, v9
	v_fmac_f32_e32 v64, 0xbf737871, v12
	v_add_f32_e32 v30, v53, v30
	v_add_f32_e32 v23, v37, v23
	v_fmac_f32_e32 v19, 0xbf167918, v28
	v_fmac_f32_e32 v26, 0x3f167918, v20
	;; [unrolled: 1-line block ×5, first 2 shown]
	v_add_f32_e32 v2, v6, v2
	v_add_f32_e32 v3, v8, v3
	v_fmac_f32_e32 v4, 0xbf167918, v21
	v_sub_f32_e32 v58, v7, v6
	v_fmamk_f32 v37, v50, 0xbf737871, v31
	v_fmac_f32_e32 v31, 0x3f737871, v50
	v_fmac_f32_e32 v15, 0x3e9e377a, v14
	;; [unrolled: 1-line block ×3, first 2 shown]
	v_sub_f32_e32 v62, v6, v7
	v_fmamk_f32 v39, v60, 0x3f737871, v16
	v_fmac_f32_e32 v16, 0xbf737871, v60
	v_fmac_f32_e32 v10, 0x3f167918, v9
	;; [unrolled: 1-line block ×5, first 2 shown]
	v_add_f32_e32 v6, v52, v30
	v_add_f32_e32 v8, v33, v23
	v_fmac_f32_e32 v19, 0x3e9e377a, v0
	v_fmac_f32_e32 v26, 0x3e9e377a, v22
	;; [unrolled: 1-line block ×5, first 2 shown]
	v_add_f32_e32 v2, v7, v2
	v_add_f32_e32 v7, v11, v3
	v_fmac_f32_e32 v4, 0x3e9e377a, v5
	v_add_f32_e32 v29, v57, v58
	v_fmac_f32_e32 v31, 0x3f167918, v60
	v_mul_f32_e32 v12, 0xbf167918, v13
	v_mul_f32_e32 v20, 0x3f167918, v15
	v_add_f32_e32 v32, v61, v62
	v_fmac_f32_e32 v16, 0x3f167918, v50
	v_fmac_f32_e32 v10, 0x3e9e377a, v1
	;; [unrolled: 1-line block ×5, first 2 shown]
	v_sub_f32_e32 v1, v6, v8
	v_add_f32_e32 v3, v6, v8
	v_mul_f32_e32 v8, 0xbf737871, v26
	v_mul_f32_e32 v18, 0x3f737871, v19
	v_fmac_f32_e32 v39, 0xbf167918, v50
	v_mul_f32_e32 v5, 0x3f4f1bbd, v34
	v_mul_f32_e32 v6, 0x3e9e377a, v38
	;; [unrolled: 1-line block ×3, first 2 shown]
	v_fmac_f32_e32 v37, 0xbf167918, v60
	v_sub_f32_e32 v0, v2, v7
	v_add_f32_e32 v2, v2, v7
	v_mul_f32_e32 v7, 0x3f4f1bbd, v4
	v_fmac_f32_e32 v31, 0x3e9e377a, v29
	v_fmac_f32_e32 v12, 0x3f4f1bbd, v15
	;; [unrolled: 1-line block ×7, first 2 shown]
	v_fma_f32 v11, 0xbf167918, v4, -v5
	v_fma_f32 v6, 0xbf737871, v36, -v6
	;; [unrolled: 1-line block ×3, first 2 shown]
	v_fmac_f32_e32 v37, 0x3e9e377a, v29
	v_fma_f32 v19, 0x3f167918, v34, -v7
	v_add_f32_e32 v15, v64, v12
	v_add_f32_e32 v14, v31, v20
	v_sub_f32_e32 v7, v64, v12
	v_add_f32_e32 v13, v17, v8
	v_add_f32_e32 v12, v16, v18
	global_store_dwordx2 v[24:25], v[2:3], off
	global_store_dwordx2 v[42:43], v[0:1], off offset:1624
	v_sub_f32_e32 v1, v10, v11
	v_add_f32_e32 v9, v10, v11
	v_add_f32_e32 v11, v35, v6
	;; [unrolled: 1-line block ×3, first 2 shown]
	v_sub_f32_e32 v5, v17, v8
	v_add_f32_e32 v8, v37, v19
	v_sub_f32_e32 v3, v35, v6
	v_sub_f32_e32 v6, v31, v20
	;; [unrolled: 1-line block ×5, first 2 shown]
	global_store_dwordx2 v[24:25], v[14:15], off offset:1144
	global_store_dwordx2 v[40:41], v[12:13], off offset:240
	;; [unrolled: 1-line block ×8, first 2 shown]
.LBB0_21:
	s_endpgm
	.section	.rodata,"a",@progbits
	.p2align	6, 0x0
	.amdhsa_kernel fft_rtc_fwd_len1430_factors_13_11_10_wgs_143_tpt_143_sp_op_CI_CI_unitstride_sbrr_dirReg
		.amdhsa_group_segment_fixed_size 0
		.amdhsa_private_segment_fixed_size 0
		.amdhsa_kernarg_size 104
		.amdhsa_user_sgpr_count 6
		.amdhsa_user_sgpr_private_segment_buffer 1
		.amdhsa_user_sgpr_dispatch_ptr 0
		.amdhsa_user_sgpr_queue_ptr 0
		.amdhsa_user_sgpr_kernarg_segment_ptr 1
		.amdhsa_user_sgpr_dispatch_id 0
		.amdhsa_user_sgpr_flat_scratch_init 0
		.amdhsa_user_sgpr_private_segment_size 0
		.amdhsa_wavefront_size32 1
		.amdhsa_uses_dynamic_stack 0
		.amdhsa_system_sgpr_private_segment_wavefront_offset 0
		.amdhsa_system_sgpr_workgroup_id_x 1
		.amdhsa_system_sgpr_workgroup_id_y 0
		.amdhsa_system_sgpr_workgroup_id_z 0
		.amdhsa_system_sgpr_workgroup_info 0
		.amdhsa_system_vgpr_workitem_id 0
		.amdhsa_next_free_vgpr 127
		.amdhsa_next_free_sgpr 27
		.amdhsa_reserve_vcc 1
		.amdhsa_reserve_flat_scratch 0
		.amdhsa_float_round_mode_32 0
		.amdhsa_float_round_mode_16_64 0
		.amdhsa_float_denorm_mode_32 3
		.amdhsa_float_denorm_mode_16_64 3
		.amdhsa_dx10_clamp 1
		.amdhsa_ieee_mode 1
		.amdhsa_fp16_overflow 0
		.amdhsa_workgroup_processor_mode 1
		.amdhsa_memory_ordered 1
		.amdhsa_forward_progress 0
		.amdhsa_shared_vgpr_count 0
		.amdhsa_exception_fp_ieee_invalid_op 0
		.amdhsa_exception_fp_denorm_src 0
		.amdhsa_exception_fp_ieee_div_zero 0
		.amdhsa_exception_fp_ieee_overflow 0
		.amdhsa_exception_fp_ieee_underflow 0
		.amdhsa_exception_fp_ieee_inexact 0
		.amdhsa_exception_int_div_zero 0
	.end_amdhsa_kernel
	.text
.Lfunc_end0:
	.size	fft_rtc_fwd_len1430_factors_13_11_10_wgs_143_tpt_143_sp_op_CI_CI_unitstride_sbrr_dirReg, .Lfunc_end0-fft_rtc_fwd_len1430_factors_13_11_10_wgs_143_tpt_143_sp_op_CI_CI_unitstride_sbrr_dirReg
                                        ; -- End function
	.section	.AMDGPU.csdata,"",@progbits
; Kernel info:
; codeLenInByte = 8404
; NumSgprs: 29
; NumVgprs: 127
; ScratchSize: 0
; MemoryBound: 0
; FloatMode: 240
; IeeeMode: 1
; LDSByteSize: 0 bytes/workgroup (compile time only)
; SGPRBlocks: 3
; VGPRBlocks: 15
; NumSGPRsForWavesPerEU: 29
; NumVGPRsForWavesPerEU: 127
; Occupancy: 8
; WaveLimiterHint : 1
; COMPUTE_PGM_RSRC2:SCRATCH_EN: 0
; COMPUTE_PGM_RSRC2:USER_SGPR: 6
; COMPUTE_PGM_RSRC2:TRAP_HANDLER: 0
; COMPUTE_PGM_RSRC2:TGID_X_EN: 1
; COMPUTE_PGM_RSRC2:TGID_Y_EN: 0
; COMPUTE_PGM_RSRC2:TGID_Z_EN: 0
; COMPUTE_PGM_RSRC2:TIDIG_COMP_CNT: 0
	.text
	.p2alignl 6, 3214868480
	.fill 48, 4, 3214868480
	.type	__hip_cuid_e2e62dbfe496c7dd,@object ; @__hip_cuid_e2e62dbfe496c7dd
	.section	.bss,"aw",@nobits
	.globl	__hip_cuid_e2e62dbfe496c7dd
__hip_cuid_e2e62dbfe496c7dd:
	.byte	0                               ; 0x0
	.size	__hip_cuid_e2e62dbfe496c7dd, 1

	.ident	"AMD clang version 19.0.0git (https://github.com/RadeonOpenCompute/llvm-project roc-6.4.0 25133 c7fe45cf4b819c5991fe208aaa96edf142730f1d)"
	.section	".note.GNU-stack","",@progbits
	.addrsig
	.addrsig_sym __hip_cuid_e2e62dbfe496c7dd
	.amdgpu_metadata
---
amdhsa.kernels:
  - .args:
      - .actual_access:  read_only
        .address_space:  global
        .offset:         0
        .size:           8
        .value_kind:     global_buffer
      - .offset:         8
        .size:           8
        .value_kind:     by_value
      - .actual_access:  read_only
        .address_space:  global
        .offset:         16
        .size:           8
        .value_kind:     global_buffer
      - .actual_access:  read_only
        .address_space:  global
        .offset:         24
        .size:           8
        .value_kind:     global_buffer
      - .actual_access:  read_only
        .address_space:  global
        .offset:         32
        .size:           8
        .value_kind:     global_buffer
      - .offset:         40
        .size:           8
        .value_kind:     by_value
      - .actual_access:  read_only
        .address_space:  global
        .offset:         48
        .size:           8
        .value_kind:     global_buffer
      - .actual_access:  read_only
        .address_space:  global
        .offset:         56
        .size:           8
        .value_kind:     global_buffer
      - .offset:         64
        .size:           4
        .value_kind:     by_value
      - .actual_access:  read_only
        .address_space:  global
        .offset:         72
        .size:           8
        .value_kind:     global_buffer
      - .actual_access:  read_only
        .address_space:  global
        .offset:         80
        .size:           8
        .value_kind:     global_buffer
      - .actual_access:  read_only
        .address_space:  global
        .offset:         88
        .size:           8
        .value_kind:     global_buffer
      - .actual_access:  write_only
        .address_space:  global
        .offset:         96
        .size:           8
        .value_kind:     global_buffer
    .group_segment_fixed_size: 0
    .kernarg_segment_align: 8
    .kernarg_segment_size: 104
    .language:       OpenCL C
    .language_version:
      - 2
      - 0
    .max_flat_workgroup_size: 143
    .name:           fft_rtc_fwd_len1430_factors_13_11_10_wgs_143_tpt_143_sp_op_CI_CI_unitstride_sbrr_dirReg
    .private_segment_fixed_size: 0
    .sgpr_count:     29
    .sgpr_spill_count: 0
    .symbol:         fft_rtc_fwd_len1430_factors_13_11_10_wgs_143_tpt_143_sp_op_CI_CI_unitstride_sbrr_dirReg.kd
    .uniform_work_group_size: 1
    .uses_dynamic_stack: false
    .vgpr_count:     127
    .vgpr_spill_count: 0
    .wavefront_size: 32
    .workgroup_processor_mode: 1
amdhsa.target:   amdgcn-amd-amdhsa--gfx1030
amdhsa.version:
  - 1
  - 2
...

	.end_amdgpu_metadata
